;; amdgpu-corpus repo=ROCm/rocFFT kind=compiled arch=gfx1100 opt=O3
	.text
	.amdgcn_target "amdgcn-amd-amdhsa--gfx1100"
	.amdhsa_code_object_version 6
	.protected	fft_rtc_fwd_len588_factors_7_3_4_7_wgs_252_tpt_84_sp_op_CI_CI_unitstride_sbrr_dirReg ; -- Begin function fft_rtc_fwd_len588_factors_7_3_4_7_wgs_252_tpt_84_sp_op_CI_CI_unitstride_sbrr_dirReg
	.globl	fft_rtc_fwd_len588_factors_7_3_4_7_wgs_252_tpt_84_sp_op_CI_CI_unitstride_sbrr_dirReg
	.p2align	8
	.type	fft_rtc_fwd_len588_factors_7_3_4_7_wgs_252_tpt_84_sp_op_CI_CI_unitstride_sbrr_dirReg,@function
fft_rtc_fwd_len588_factors_7_3_4_7_wgs_252_tpt_84_sp_op_CI_CI_unitstride_sbrr_dirReg: ; @fft_rtc_fwd_len588_factors_7_3_4_7_wgs_252_tpt_84_sp_op_CI_CI_unitstride_sbrr_dirReg
; %bb.0:
	s_load_b128 s[8:11], s[0:1], 0x0
	v_mul_u32_u24_e32 v1, 0x30d, v0
	s_clause 0x1
	s_load_b128 s[4:7], s[0:1], 0x58
	s_load_b128 s[16:19], s[0:1], 0x18
	v_mov_b32_e32 v5, 0
	v_lshrrev_b32_e32 v6, 16, v1
	v_mov_b32_e32 v1, 0
	v_mov_b32_e32 v2, 0
	s_delay_alu instid0(VALU_DEP_3) | instskip(NEXT) | instid1(VALU_DEP_2)
	v_mad_u64_u32 v[3:4], null, s15, 3, v[6:7]
	v_dual_mov_b32 v4, v5 :: v_dual_mov_b32 v15, v2
	s_delay_alu instid0(VALU_DEP_1) | instskip(NEXT) | instid1(VALU_DEP_3)
	v_dual_mov_b32 v14, v1 :: v_dual_mov_b32 v17, v4
	v_mov_b32_e32 v16, v3
	s_waitcnt lgkmcnt(0)
	v_cmp_lt_u64_e64 s2, s[10:11], 2
	s_delay_alu instid0(VALU_DEP_1)
	s_and_b32 vcc_lo, exec_lo, s2
	s_cbranch_vccnz .LBB0_8
; %bb.1:
	s_load_b64 s[2:3], s[0:1], 0x10
	v_dual_mov_b32 v1, 0 :: v_dual_mov_b32 v8, v4
	v_dual_mov_b32 v2, 0 :: v_dual_mov_b32 v7, v3
	s_add_u32 s12, s18, 8
	s_addc_u32 s13, s19, 0
	s_add_u32 s14, s16, 8
	s_delay_alu instid0(VALU_DEP_1)
	v_dual_mov_b32 v15, v2 :: v_dual_mov_b32 v14, v1
	s_addc_u32 s15, s17, 0
	s_mov_b64 s[22:23], 1
	s_waitcnt lgkmcnt(0)
	s_add_u32 s20, s2, 8
	s_addc_u32 s21, s3, 0
.LBB0_2:                                ; =>This Inner Loop Header: Depth=1
	s_load_b64 s[24:25], s[20:21], 0x0
                                        ; implicit-def: $vgpr16_vgpr17
	s_mov_b32 s2, exec_lo
	s_waitcnt lgkmcnt(0)
	v_or_b32_e32 v6, s25, v8
	s_delay_alu instid0(VALU_DEP_1)
	v_cmpx_ne_u64_e32 0, v[5:6]
	s_xor_b32 s3, exec_lo, s2
	s_cbranch_execz .LBB0_4
; %bb.3:                                ;   in Loop: Header=BB0_2 Depth=1
	v_cvt_f32_u32_e32 v4, s24
	v_cvt_f32_u32_e32 v6, s25
	s_sub_u32 s2, 0, s24
	s_subb_u32 s26, 0, s25
	s_delay_alu instid0(VALU_DEP_1) | instskip(NEXT) | instid1(VALU_DEP_1)
	v_fmac_f32_e32 v4, 0x4f800000, v6
	v_rcp_f32_e32 v4, v4
	s_waitcnt_depctr 0xfff
	v_mul_f32_e32 v4, 0x5f7ffffc, v4
	s_delay_alu instid0(VALU_DEP_1) | instskip(NEXT) | instid1(VALU_DEP_1)
	v_mul_f32_e32 v6, 0x2f800000, v4
	v_trunc_f32_e32 v6, v6
	s_delay_alu instid0(VALU_DEP_1) | instskip(SKIP_1) | instid1(VALU_DEP_2)
	v_fmac_f32_e32 v4, 0xcf800000, v6
	v_cvt_u32_f32_e32 v6, v6
	v_cvt_u32_f32_e32 v4, v4
	s_delay_alu instid0(VALU_DEP_2) | instskip(NEXT) | instid1(VALU_DEP_2)
	v_mul_lo_u32 v9, s2, v6
	v_mul_hi_u32 v10, s2, v4
	v_mul_lo_u32 v11, s26, v4
	s_delay_alu instid0(VALU_DEP_2) | instskip(SKIP_1) | instid1(VALU_DEP_2)
	v_add_nc_u32_e32 v9, v10, v9
	v_mul_lo_u32 v10, s2, v4
	v_add_nc_u32_e32 v9, v9, v11
	s_delay_alu instid0(VALU_DEP_2) | instskip(NEXT) | instid1(VALU_DEP_2)
	v_mul_hi_u32 v11, v4, v10
	v_mul_lo_u32 v12, v4, v9
	v_mul_hi_u32 v13, v4, v9
	v_mul_hi_u32 v16, v6, v10
	v_mul_lo_u32 v10, v6, v10
	v_mul_hi_u32 v17, v6, v9
	v_mul_lo_u32 v9, v6, v9
	v_add_co_u32 v11, vcc_lo, v11, v12
	v_add_co_ci_u32_e32 v12, vcc_lo, 0, v13, vcc_lo
	s_delay_alu instid0(VALU_DEP_2) | instskip(NEXT) | instid1(VALU_DEP_2)
	v_add_co_u32 v10, vcc_lo, v11, v10
	v_add_co_ci_u32_e32 v10, vcc_lo, v12, v16, vcc_lo
	v_add_co_ci_u32_e32 v11, vcc_lo, 0, v17, vcc_lo
	s_delay_alu instid0(VALU_DEP_2) | instskip(NEXT) | instid1(VALU_DEP_2)
	v_add_co_u32 v9, vcc_lo, v10, v9
	v_add_co_ci_u32_e32 v10, vcc_lo, 0, v11, vcc_lo
	s_delay_alu instid0(VALU_DEP_2) | instskip(NEXT) | instid1(VALU_DEP_2)
	v_add_co_u32 v4, vcc_lo, v4, v9
	v_add_co_ci_u32_e32 v6, vcc_lo, v6, v10, vcc_lo
	s_delay_alu instid0(VALU_DEP_2) | instskip(SKIP_1) | instid1(VALU_DEP_3)
	v_mul_hi_u32 v9, s2, v4
	v_mul_lo_u32 v11, s26, v4
	v_mul_lo_u32 v10, s2, v6
	s_delay_alu instid0(VALU_DEP_1) | instskip(SKIP_1) | instid1(VALU_DEP_2)
	v_add_nc_u32_e32 v9, v9, v10
	v_mul_lo_u32 v10, s2, v4
	v_add_nc_u32_e32 v9, v9, v11
	s_delay_alu instid0(VALU_DEP_2) | instskip(NEXT) | instid1(VALU_DEP_2)
	v_mul_hi_u32 v11, v4, v10
	v_mul_lo_u32 v12, v4, v9
	v_mul_hi_u32 v13, v4, v9
	v_mul_hi_u32 v16, v6, v10
	v_mul_lo_u32 v10, v6, v10
	v_mul_hi_u32 v17, v6, v9
	v_mul_lo_u32 v9, v6, v9
	v_add_co_u32 v11, vcc_lo, v11, v12
	v_add_co_ci_u32_e32 v12, vcc_lo, 0, v13, vcc_lo
	s_delay_alu instid0(VALU_DEP_2) | instskip(NEXT) | instid1(VALU_DEP_2)
	v_add_co_u32 v10, vcc_lo, v11, v10
	v_add_co_ci_u32_e32 v10, vcc_lo, v12, v16, vcc_lo
	v_add_co_ci_u32_e32 v11, vcc_lo, 0, v17, vcc_lo
	s_delay_alu instid0(VALU_DEP_2) | instskip(NEXT) | instid1(VALU_DEP_2)
	v_add_co_u32 v9, vcc_lo, v10, v9
	v_add_co_ci_u32_e32 v10, vcc_lo, 0, v11, vcc_lo
	s_delay_alu instid0(VALU_DEP_2) | instskip(NEXT) | instid1(VALU_DEP_2)
	v_add_co_u32 v4, vcc_lo, v4, v9
	v_add_co_ci_u32_e32 v6, vcc_lo, v6, v10, vcc_lo
	s_delay_alu instid0(VALU_DEP_2) | instskip(SKIP_1) | instid1(VALU_DEP_3)
	v_mul_hi_u32 v13, v7, v4
	v_mad_u64_u32 v[11:12], null, v8, v4, 0
	v_mad_u64_u32 v[9:10], null, v7, v6, 0
	;; [unrolled: 1-line block ×3, first 2 shown]
	s_delay_alu instid0(VALU_DEP_2) | instskip(NEXT) | instid1(VALU_DEP_3)
	v_add_co_u32 v4, vcc_lo, v13, v9
	v_add_co_ci_u32_e32 v6, vcc_lo, 0, v10, vcc_lo
	s_delay_alu instid0(VALU_DEP_2) | instskip(NEXT) | instid1(VALU_DEP_2)
	v_add_co_u32 v4, vcc_lo, v4, v11
	v_add_co_ci_u32_e32 v4, vcc_lo, v6, v12, vcc_lo
	v_add_co_ci_u32_e32 v6, vcc_lo, 0, v17, vcc_lo
	s_delay_alu instid0(VALU_DEP_2) | instskip(NEXT) | instid1(VALU_DEP_2)
	v_add_co_u32 v4, vcc_lo, v4, v16
	v_add_co_ci_u32_e32 v6, vcc_lo, 0, v6, vcc_lo
	s_delay_alu instid0(VALU_DEP_2) | instskip(SKIP_1) | instid1(VALU_DEP_3)
	v_mul_lo_u32 v11, s25, v4
	v_mad_u64_u32 v[9:10], null, s24, v4, 0
	v_mul_lo_u32 v12, s24, v6
	s_delay_alu instid0(VALU_DEP_2) | instskip(NEXT) | instid1(VALU_DEP_2)
	v_sub_co_u32 v9, vcc_lo, v7, v9
	v_add3_u32 v10, v10, v12, v11
	s_delay_alu instid0(VALU_DEP_1) | instskip(NEXT) | instid1(VALU_DEP_1)
	v_sub_nc_u32_e32 v11, v8, v10
	v_subrev_co_ci_u32_e64 v11, s2, s25, v11, vcc_lo
	v_add_co_u32 v12, s2, v4, 2
	s_delay_alu instid0(VALU_DEP_1) | instskip(SKIP_3) | instid1(VALU_DEP_3)
	v_add_co_ci_u32_e64 v13, s2, 0, v6, s2
	v_sub_co_u32 v16, s2, v9, s24
	v_sub_co_ci_u32_e32 v10, vcc_lo, v8, v10, vcc_lo
	v_subrev_co_ci_u32_e64 v11, s2, 0, v11, s2
	v_cmp_le_u32_e32 vcc_lo, s24, v16
	s_delay_alu instid0(VALU_DEP_3) | instskip(SKIP_1) | instid1(VALU_DEP_4)
	v_cmp_eq_u32_e64 s2, s25, v10
	v_cndmask_b32_e64 v16, 0, -1, vcc_lo
	v_cmp_le_u32_e32 vcc_lo, s25, v11
	v_cndmask_b32_e64 v17, 0, -1, vcc_lo
	v_cmp_le_u32_e32 vcc_lo, s24, v9
	;; [unrolled: 2-line block ×3, first 2 shown]
	v_cndmask_b32_e64 v18, 0, -1, vcc_lo
	v_cmp_eq_u32_e32 vcc_lo, s25, v11
	s_delay_alu instid0(VALU_DEP_2) | instskip(SKIP_3) | instid1(VALU_DEP_3)
	v_cndmask_b32_e64 v9, v18, v9, s2
	v_cndmask_b32_e32 v11, v17, v16, vcc_lo
	v_add_co_u32 v16, vcc_lo, v4, 1
	v_add_co_ci_u32_e32 v17, vcc_lo, 0, v6, vcc_lo
	v_cmp_ne_u32_e32 vcc_lo, 0, v11
	s_delay_alu instid0(VALU_DEP_2) | instskip(SKIP_1) | instid1(VALU_DEP_2)
	v_dual_cndmask_b32 v10, v17, v13 :: v_dual_cndmask_b32 v11, v16, v12
	v_cmp_ne_u32_e32 vcc_lo, 0, v9
	v_dual_cndmask_b32 v17, v6, v10 :: v_dual_cndmask_b32 v16, v4, v11
.LBB0_4:                                ;   in Loop: Header=BB0_2 Depth=1
	s_and_not1_saveexec_b32 s2, s3
	s_cbranch_execz .LBB0_6
; %bb.5:                                ;   in Loop: Header=BB0_2 Depth=1
	v_cvt_f32_u32_e32 v4, s24
	s_sub_i32 s3, 0, s24
	v_mov_b32_e32 v17, v5
	s_delay_alu instid0(VALU_DEP_2) | instskip(SKIP_2) | instid1(VALU_DEP_1)
	v_rcp_iflag_f32_e32 v4, v4
	s_waitcnt_depctr 0xfff
	v_mul_f32_e32 v4, 0x4f7ffffe, v4
	v_cvt_u32_f32_e32 v4, v4
	s_delay_alu instid0(VALU_DEP_1) | instskip(NEXT) | instid1(VALU_DEP_1)
	v_mul_lo_u32 v6, s3, v4
	v_mul_hi_u32 v6, v4, v6
	s_delay_alu instid0(VALU_DEP_1) | instskip(NEXT) | instid1(VALU_DEP_1)
	v_add_nc_u32_e32 v4, v4, v6
	v_mul_hi_u32 v4, v7, v4
	s_delay_alu instid0(VALU_DEP_1) | instskip(NEXT) | instid1(VALU_DEP_1)
	v_mul_lo_u32 v6, v4, s24
	v_sub_nc_u32_e32 v6, v7, v6
	s_delay_alu instid0(VALU_DEP_1) | instskip(SKIP_1) | instid1(VALU_DEP_2)
	v_subrev_nc_u32_e32 v10, s24, v6
	v_cmp_le_u32_e32 vcc_lo, s24, v6
	v_dual_cndmask_b32 v6, v6, v10 :: v_dual_add_nc_u32 v9, 1, v4
	s_delay_alu instid0(VALU_DEP_1) | instskip(NEXT) | instid1(VALU_DEP_2)
	v_cndmask_b32_e32 v4, v4, v9, vcc_lo
	v_cmp_le_u32_e32 vcc_lo, s24, v6
	s_delay_alu instid0(VALU_DEP_2) | instskip(NEXT) | instid1(VALU_DEP_1)
	v_add_nc_u32_e32 v9, 1, v4
	v_cndmask_b32_e32 v16, v4, v9, vcc_lo
.LBB0_6:                                ;   in Loop: Header=BB0_2 Depth=1
	s_or_b32 exec_lo, exec_lo, s2
	s_delay_alu instid0(VALU_DEP_1) | instskip(NEXT) | instid1(VALU_DEP_2)
	v_mul_lo_u32 v4, v17, s24
	v_mul_lo_u32 v6, v16, s25
	s_load_b64 s[2:3], s[14:15], 0x0
	v_mad_u64_u32 v[9:10], null, v16, s24, 0
	s_load_b64 s[24:25], s[12:13], 0x0
	s_add_u32 s22, s22, 1
	s_addc_u32 s23, s23, 0
	s_add_u32 s12, s12, 8
	s_addc_u32 s13, s13, 0
	s_add_u32 s14, s14, 8
	s_delay_alu instid0(VALU_DEP_1) | instskip(SKIP_3) | instid1(VALU_DEP_2)
	v_add3_u32 v4, v10, v6, v4
	v_sub_co_u32 v10, vcc_lo, v7, v9
	s_addc_u32 s15, s15, 0
	s_add_u32 s20, s20, 8
	v_sub_co_ci_u32_e32 v4, vcc_lo, v8, v4, vcc_lo
	s_addc_u32 s21, s21, 0
	s_waitcnt lgkmcnt(0)
	s_delay_alu instid0(VALU_DEP_1)
	v_mul_lo_u32 v11, s2, v4
	v_mul_lo_u32 v12, s3, v10
	v_mad_u64_u32 v[6:7], null, s2, v10, v[1:2]
	v_mul_lo_u32 v4, s24, v4
	v_mul_lo_u32 v13, s25, v10
	v_mad_u64_u32 v[8:9], null, s24, v10, v[14:15]
	v_cmp_ge_u64_e64 s2, s[22:23], s[10:11]
	v_add3_u32 v2, v12, v7, v11
	s_delay_alu instid0(VALU_DEP_3) | instskip(NEXT) | instid1(VALU_DEP_4)
	v_dual_mov_b32 v1, v6 :: v_dual_mov_b32 v14, v8
	v_add3_u32 v15, v13, v9, v4
	s_delay_alu instid0(VALU_DEP_4)
	s_and_b32 vcc_lo, exec_lo, s2
	s_cbranch_vccnz .LBB0_8
; %bb.7:                                ;   in Loop: Header=BB0_2 Depth=1
	v_dual_mov_b32 v7, v16 :: v_dual_mov_b32 v8, v17
	s_branch .LBB0_2
.LBB0_8:
	s_load_b64 s[0:1], s[0:1], 0x28
	v_mul_hi_u32 v4, 0xaaaaaaab, v3
	s_lshl_b64 s[10:11], s[10:11], 3
                                        ; implicit-def: $vgpr18
                                        ; implicit-def: $vgpr27
                                        ; implicit-def: $vgpr31
	s_delay_alu instid0(SALU_CYCLE_1) | instskip(SKIP_1) | instid1(VALU_DEP_1)
	s_add_u32 s2, s18, s10
	s_addc_u32 s3, s19, s11
	v_lshrrev_b32_e32 v4, 1, v4
	s_delay_alu instid0(VALU_DEP_1) | instskip(SKIP_1) | instid1(VALU_DEP_2)
	v_lshl_add_u32 v5, v4, 1, v4
	v_mul_hi_u32 v4, 0x30c30c4, v0
	v_sub_nc_u32_e32 v3, v3, v5
	s_waitcnt lgkmcnt(0)
	v_cmp_gt_u64_e32 vcc_lo, s[0:1], v[16:17]
	v_cmp_le_u64_e64 s0, s[0:1], v[16:17]
	s_delay_alu instid0(VALU_DEP_1) | instskip(NEXT) | instid1(SALU_CYCLE_1)
	s_and_saveexec_b32 s1, s0
	s_xor_b32 s0, exec_lo, s1
; %bb.9:
	s_delay_alu instid0(VALU_DEP_4) | instskip(NEXT) | instid1(VALU_DEP_1)
	v_mul_u32_u24_e32 v1, 0x54, v4
                                        ; implicit-def: $vgpr4
	v_sub_nc_u32_e32 v18, v0, v1
                                        ; implicit-def: $vgpr0
                                        ; implicit-def: $vgpr1_vgpr2
	s_delay_alu instid0(VALU_DEP_1)
	v_add_nc_u32_e32 v27, 0x54, v18
	v_add_nc_u32_e32 v31, 0xa8, v18
; %bb.10:
	s_or_saveexec_b32 s1, s0
	v_mul_u32_u24_e32 v3, 0x24c, v3
	s_delay_alu instid0(VALU_DEP_1)
	v_lshlrev_b32_e32 v25, 3, v3
	s_xor_b32 exec_lo, exec_lo, s1
	s_cbranch_execz .LBB0_12
; %bb.11:
	s_add_u32 s10, s16, s10
	s_addc_u32 s11, s17, s11
	v_lshlrev_b64 v[1:2], 3, v[1:2]
	s_load_b64 s[10:11], s[10:11], 0x0
	s_waitcnt lgkmcnt(0)
	v_mul_lo_u32 v3, s11, v16
	v_mul_lo_u32 v7, s10, v17
	v_mad_u64_u32 v[5:6], null, s10, v16, 0
	s_delay_alu instid0(VALU_DEP_1) | instskip(SKIP_1) | instid1(VALU_DEP_2)
	v_add3_u32 v6, v6, v7, v3
	v_mul_u32_u24_e32 v7, 0x54, v4
	v_lshlrev_b64 v[3:4], 3, v[5:6]
	s_delay_alu instid0(VALU_DEP_2) | instskip(NEXT) | instid1(VALU_DEP_1)
	v_sub_nc_u32_e32 v18, v0, v7
	v_lshlrev_b32_e32 v19, 3, v18
	s_delay_alu instid0(VALU_DEP_3) | instskip(NEXT) | instid1(VALU_DEP_1)
	v_add_co_u32 v0, s0, s4, v3
	v_add_co_ci_u32_e64 v3, s0, s5, v4, s0
	v_add_nc_u32_e32 v27, 0x54, v18
	s_delay_alu instid0(VALU_DEP_3) | instskip(NEXT) | instid1(VALU_DEP_1)
	v_add_co_u32 v0, s0, v0, v1
	v_add_co_ci_u32_e64 v1, s0, v3, v2, s0
	v_add_nc_u32_e32 v31, 0xa8, v18
	s_delay_alu instid0(VALU_DEP_3) | instskip(NEXT) | instid1(VALU_DEP_1)
	v_add_co_u32 v0, s0, v0, v19
	v_add_co_ci_u32_e64 v1, s0, 0, v1, s0
	s_clause 0x6
	global_load_b64 v[2:3], v[0:1], off
	global_load_b64 v[4:5], v[0:1], off offset:672
	global_load_b64 v[6:7], v[0:1], off offset:1344
	global_load_b64 v[8:9], v[0:1], off offset:2016
	global_load_b64 v[10:11], v[0:1], off offset:2688
	global_load_b64 v[12:13], v[0:1], off offset:3360
	global_load_b64 v[0:1], v[0:1], off offset:4032
	v_add3_u32 v19, 0, v25, v19
	s_delay_alu instid0(VALU_DEP_1)
	v_add_nc_u32_e32 v20, 0x800, v19
	s_waitcnt vmcnt(5)
	ds_store_2addr_b64 v19, v[2:3], v[4:5] offset1:84
	s_waitcnt vmcnt(3)
	ds_store_2addr_b64 v19, v[6:7], v[8:9] offset0:168 offset1:252
	s_waitcnt vmcnt(1)
	ds_store_2addr_b64 v20, v[10:11], v[12:13] offset0:80 offset1:164
	s_waitcnt vmcnt(0)
	ds_store_b64 v19, v[0:1] offset:4032
.LBB0_12:
	s_or_b32 exec_lo, exec_lo, s1
	v_lshlrev_b32_e32 v12, 3, v18
	s_load_b64 s[2:3], s[2:3], 0x0
	s_waitcnt lgkmcnt(0)
	s_barrier
	buffer_gl0_inv
	v_add3_u32 v24, 0, v12, v25
	v_cmp_gt_u32_e64 s0, 28, v18
	s_delay_alu instid0(VALU_DEP_2)
	v_add_nc_u32_e32 v29, 0x800, v24
	ds_load_2addr_b64 v[0:3], v24 offset0:84 offset1:168
	ds_load_2addr_b64 v[4:7], v29 offset0:164 offset1:248
	v_add_nc_u32_e32 v30, 0x400, v24
	v_add_nc_u32_e32 v23, 0, v25
	s_waitcnt lgkmcnt(0)
	v_add_f32_e32 v19, v0, v6
	v_sub_f32_e32 v0, v0, v6
	ds_load_2addr_b64 v[8:11], v30 offset0:124 offset1:208
	v_add_f32_e32 v20, v1, v7
	v_dual_sub_f32 v1, v1, v7 :: v_dual_add_nc_u32 v26, v23, v12
	v_dual_add_f32 v6, v2, v4 :: v_dual_add_f32 v7, v3, v5
	v_dual_sub_f32 v2, v2, v4 :: v_dual_sub_f32 v3, v3, v5
	s_delay_alu instid0(VALU_DEP_2)
	v_dual_sub_f32 v21, v6, v19 :: v_dual_sub_f32 v22, v7, v20
	s_waitcnt lgkmcnt(0)
	v_add_f32_e32 v5, v9, v11
	ds_load_b64 v[12:13], v26
	v_dual_add_f32 v4, v8, v10 :: v_dual_sub_f32 v9, v11, v9
	v_sub_f32_e32 v8, v10, v8
	v_dual_add_f32 v10, v6, v19 :: v_dual_add_f32 v11, v7, v20
	s_delay_alu instid0(VALU_DEP_3) | instskip(SKIP_1) | instid1(VALU_DEP_4)
	v_dual_sub_f32 v19, v19, v4 :: v_dual_sub_f32 v20, v20, v5
	v_dual_sub_f32 v6, v4, v6 :: v_dual_sub_f32 v7, v5, v7
	v_add_f32_e32 v28, v8, v2
	v_dual_add_f32 v32, v9, v3 :: v_dual_sub_f32 v33, v8, v2
	v_dual_sub_f32 v8, v0, v8 :: v_dual_add_f32 v5, v5, v11
	v_add_f32_e32 v4, v4, v10
	s_delay_alu instid0(VALU_DEP_3)
	v_dual_sub_f32 v34, v9, v3 :: v_dual_add_f32 v11, v32, v1
	v_dual_sub_f32 v9, v1, v9 :: v_dual_sub_f32 v2, v2, v0
	v_mul_f32_e32 v19, 0x3f4a47b2, v19
	v_dual_sub_f32 v3, v3, v1 :: v_dual_add_f32 v10, v28, v0
	s_waitcnt lgkmcnt(0)
	v_add_f32_e32 v1, v13, v5
	v_dual_mul_f32 v13, 0xbf08b237, v33 :: v_dual_add_f32 v0, v12, v4
	v_mul_f32_e32 v33, 0x3f5ff5aa, v2
	s_delay_alu instid0(VALU_DEP_3) | instskip(SKIP_1) | instid1(VALU_DEP_3)
	v_fmamk_f32 v5, v5, 0xbf955555, v1
	s_barrier
	v_fmamk_f32 v4, v4, 0xbf955555, v0
	v_mul_f32_e32 v12, 0x3d64c772, v7
	v_fma_f32 v33, 0xbeae86e6, v8, -v33
	buffer_gl0_inv
	v_fma_f32 v12, 0x3f3bfb3b, v22, -v12
	v_mul_f32_e32 v20, 0x3f4a47b2, v20
	v_mul_f32_e32 v28, 0x3d64c772, v6
	v_fmac_f32_e32 v33, 0x3ee1c552, v10
	v_fmamk_f32 v6, v6, 0x3d64c772, v19
	v_fma_f32 v19, 0xbf3bfb3b, v21, -v19
	v_fmamk_f32 v7, v7, 0x3d64c772, v20
	v_fma_f32 v28, 0x3f3bfb3b, v21, -v28
	v_fma_f32 v20, 0xbf3bfb3b, v22, -v20
	v_mul_f32_e32 v32, 0xbf08b237, v34
	v_fmamk_f32 v21, v8, 0x3eae86e6, v13
	v_fma_f32 v13, 0x3f5ff5aa, v2, -v13
	v_add_f32_e32 v8, v28, v4
	v_lshl_add_u32 v28, v27, 3, v23
	v_fmamk_f32 v22, v9, 0x3eae86e6, v32
	v_dual_add_f32 v36, v7, v5 :: v_dual_fmac_f32 v21, 0x3ee1c552, v10
	v_mul_f32_e32 v34, 0x3f5ff5aa, v3
	v_fmac_f32_e32 v13, 0x3ee1c552, v10
	s_delay_alu instid0(VALU_DEP_2) | instskip(SKIP_3) | instid1(VALU_DEP_3)
	v_fma_f32 v34, 0xbeae86e6, v9, -v34
	v_dual_add_f32 v9, v12, v5 :: v_dual_add_f32 v12, v19, v4
	v_add_f32_e32 v19, v20, v5
	v_fma_f32 v32, 0x3f5ff5aa, v3, -v32
	v_dual_fmac_f32 v22, 0x3ee1c552, v11 :: v_dual_add_f32 v7, v13, v9
	v_sub_f32_e32 v9, v9, v13
	s_delay_alu instid0(VALU_DEP_3) | instskip(SKIP_2) | instid1(VALU_DEP_3)
	v_dual_sub_f32 v3, v36, v21 :: v_dual_fmac_f32 v32, 0x3ee1c552, v11
	v_sub_f32_e32 v5, v19, v33
	v_dual_add_f32 v35, v6, v4 :: v_dual_fmac_f32 v34, 0x3ee1c552, v11
	v_dual_add_f32 v11, v33, v19 :: v_dual_sub_f32 v6, v8, v32
	s_delay_alu instid0(VALU_DEP_2) | instskip(SKIP_1) | instid1(VALU_DEP_4)
	v_dual_add_f32 v8, v32, v8 :: v_dual_sub_f32 v19, v35, v22
	v_add_f32_e32 v2, v35, v22
	v_add_f32_e32 v4, v34, v12
	v_sub_f32_e32 v10, v12, v34
	v_mad_u32_u24 v12, v18, 48, v24
	v_add_f32_e32 v20, v21, v36
	ds_store_2addr_b64 v12, v[0:1], v[2:3] offset1:1
	ds_store_2addr_b64 v12, v[4:5], v[6:7] offset0:2 offset1:3
	ds_store_2addr_b64 v12, v[8:9], v[10:11] offset0:4 offset1:5
	ds_store_b64 v12, v[19:20] offset:48
	s_waitcnt lgkmcnt(0)
	s_barrier
	buffer_gl0_inv
	ds_load_b64 v[21:22], v26
	ds_load_b64 v[0:1], v28
	s_waitcnt lgkmcnt(1)
	ds_load_b32 v22, v26 offset:4
	ds_load_2addr_b64 v[6:9], v30 offset0:68 offset1:152
	ds_load_2addr_b64 v[2:5], v29 offset0:136 offset1:220
	v_lshlrev_b32_e32 v29, 3, v31
                                        ; implicit-def: $vgpr13
	s_and_saveexec_b32 s1, s0
	s_cbranch_execz .LBB0_14
; %bb.13:
	s_delay_alu instid0(VALU_DEP_1)
	v_add3_u32 v10, 0, v29, v25
	v_add_nc_u32_e32 v11, 0xa00, v24
	ds_load_b64 v[19:20], v10
	ds_load_2addr_b64 v[10:13], v11 offset0:44 offset1:240
.LBB0_14:
	s_or_b32 exec_lo, exec_lo, s1
	v_and_b32_e32 v32, 0xff, v18
	v_and_b32_e32 v30, 0xff, v27
	v_and_b32_e32 v34, 0xff, v31
	s_delay_alu instid0(VALU_DEP_3) | instskip(NEXT) | instid1(VALU_DEP_3)
	v_mul_lo_u16 v33, v32, 37
	v_mul_lo_u16 v35, v30, 37
	s_delay_alu instid0(VALU_DEP_3) | instskip(NEXT) | instid1(VALU_DEP_3)
	v_mul_lo_u16 v34, v34, 37
	v_lshrrev_b16 v33, 8, v33
	s_delay_alu instid0(VALU_DEP_3) | instskip(NEXT) | instid1(VALU_DEP_3)
	v_lshrrev_b16 v35, 8, v35
	v_lshrrev_b16 v34, 8, v34
	s_delay_alu instid0(VALU_DEP_3) | instskip(NEXT) | instid1(VALU_DEP_3)
	v_sub_nc_u16 v36, v18, v33
	v_sub_nc_u16 v37, v27, v35
	s_delay_alu instid0(VALU_DEP_3) | instskip(NEXT) | instid1(VALU_DEP_3)
	v_sub_nc_u16 v38, v31, v34
	v_lshrrev_b16 v36, 1, v36
	s_delay_alu instid0(VALU_DEP_3) | instskip(NEXT) | instid1(VALU_DEP_3)
	v_lshrrev_b16 v37, 1, v37
	v_lshrrev_b16 v38, 1, v38
	s_delay_alu instid0(VALU_DEP_3) | instskip(NEXT) | instid1(VALU_DEP_3)
	v_and_b32_e32 v36, 0x7f, v36
	v_and_b32_e32 v37, 0x7f, v37
	s_delay_alu instid0(VALU_DEP_2) | instskip(NEXT) | instid1(VALU_DEP_4)
	v_add_nc_u16 v33, v36, v33
	v_and_b32_e32 v36, 0x7f, v38
	s_delay_alu instid0(VALU_DEP_3) | instskip(NEXT) | instid1(VALU_DEP_3)
	v_add_nc_u16 v35, v37, v35
	v_lshrrev_b16 v46, 2, v33
	s_delay_alu instid0(VALU_DEP_3) | instskip(NEXT) | instid1(VALU_DEP_3)
	v_add_nc_u16 v33, v36, v34
	v_lshrrev_b16 v47, 2, v35
	s_delay_alu instid0(VALU_DEP_3) | instskip(NEXT) | instid1(VALU_DEP_3)
	v_mul_lo_u16 v34, v46, 7
	v_lshrrev_b16 v33, 2, v33
	s_delay_alu instid0(VALU_DEP_3) | instskip(NEXT) | instid1(VALU_DEP_3)
	v_mul_lo_u16 v35, v47, 7
	v_sub_nc_u16 v34, v18, v34
	s_delay_alu instid0(VALU_DEP_3) | instskip(NEXT) | instid1(VALU_DEP_3)
	v_mul_lo_u16 v36, v33, 7
	v_sub_nc_u16 v35, v27, v35
	s_delay_alu instid0(VALU_DEP_3) | instskip(NEXT) | instid1(VALU_DEP_3)
	v_and_b32_e32 v48, 0xff, v34
	v_sub_nc_u16 v31, v31, v36
	s_delay_alu instid0(VALU_DEP_3) | instskip(NEXT) | instid1(VALU_DEP_3)
	v_and_b32_e32 v49, 0xff, v35
	v_lshlrev_b32_e32 v34, 4, v48
	s_delay_alu instid0(VALU_DEP_3)
	v_and_b32_e32 v31, 0xff, v31
	global_load_b128 v[34:37], v34, s[8:9]
	v_lshlrev_b32_e32 v38, 4, v49
	v_lshlrev_b32_e32 v42, 4, v31
	s_clause 0x1
	global_load_b128 v[38:41], v38, s[8:9]
	global_load_b128 v[42:45], v42, s[8:9]
	v_and_b32_e32 v46, 0xffff, v46
	s_waitcnt vmcnt(0) lgkmcnt(0)
	s_barrier
	buffer_gl0_inv
	v_mul_f32_e32 v51, v41, v5
	v_mul_f32_e32 v41, v41, v4
	v_dual_mul_f32 v53, v13, v45 :: v_dual_lshlrev_b32 v48, 3, v48
	v_mul_f32_e32 v45, v12, v45
	v_mad_u32_u24 v46, 0xa8, v46, 0
	v_mul_f32_e32 v50, v39, v9
	v_dual_mul_f32 v52, v11, v43 :: v_dual_lshlrev_b32 v49, 3, v49
	v_mul_f32_e32 v39, v39, v8
	s_delay_alu instid0(VALU_DEP_4) | instskip(SKIP_3) | instid1(VALU_DEP_3)
	v_add3_u32 v46, v46, v48, v25
	v_mul_f32_e32 v48, v35, v7
	v_mul_f32_e32 v35, v35, v6
	;; [unrolled: 1-line block ×3, first 2 shown]
	v_fma_f32 v6, v34, v6, -v48
	v_and_b32_e32 v47, 0xffff, v47
	s_delay_alu instid0(VALU_DEP_4) | instskip(SKIP_2) | instid1(VALU_DEP_4)
	v_fmac_f32_e32 v35, v34, v7
	v_fmac_f32_e32 v41, v40, v5
	v_fma_f32 v5, v10, v42, -v52
	v_mad_u32_u24 v47, 0xa8, v47, 0
	s_delay_alu instid0(VALU_DEP_1) | instskip(SKIP_2) | instid1(VALU_DEP_2)
	v_add3_u32 v47, v47, v49, v25
	v_mul_f32_e32 v49, v37, v3
	v_mul_f32_e32 v37, v37, v2
	v_fma_f32 v2, v36, v2, -v49
	s_delay_alu instid0(VALU_DEP_2)
	v_fmac_f32_e32 v37, v36, v3
	v_fma_f32 v3, v38, v8, -v50
	v_fmac_f32_e32 v39, v38, v9
	v_fma_f32 v8, v40, v4, -v51
	v_fma_f32 v9, v12, v44, -v53
	v_add_f32_e32 v12, v22, v35
	v_dual_add_f32 v34, v0, v3 :: v_dual_fmac_f32 v43, v11, v42
	v_add_f32_e32 v40, v1, v39
	v_dual_fmac_f32 v45, v13, v44 :: v_dual_sub_f32 v38, v39, v41
	s_delay_alu instid0(VALU_DEP_3) | instskip(SKIP_4) | instid1(VALU_DEP_3)
	v_dual_sub_f32 v11, v35, v37 :: v_dual_add_f32 v48, v20, v43
	v_add_f32_e32 v13, v35, v37
	v_dual_add_f32 v35, v3, v8 :: v_dual_add_f32 v44, v5, v9
	v_dual_add_f32 v7, v6, v21 :: v_dual_sub_f32 v42, v3, v8
	v_add_f32_e32 v10, v6, v2
	v_fma_f32 v0, -0.5, v35, v0
	v_sub_f32_e32 v36, v6, v2
	v_sub_f32_e32 v4, v43, v45
	v_add_f32_e32 v43, v43, v45
	v_dual_add_f32 v6, v7, v2 :: v_dual_add_f32 v7, v12, v37
	v_add_f32_e32 v12, v34, v8
	v_dual_fmamk_f32 v8, v38, 0x3f5db3d7, v0 :: v_dual_add_f32 v39, v39, v41
	s_delay_alu instid0(VALU_DEP_4) | instskip(SKIP_2) | instid1(VALU_DEP_4)
	v_fmac_f32_e32 v20, -0.5, v43
	v_dual_fmac_f32 v22, -0.5, v13 :: v_dual_fmac_f32 v21, -0.5, v10
	v_dual_add_f32 v13, v40, v41 :: v_dual_fmac_f32 v0, 0xbf5db3d7, v38
	v_fmac_f32_e32 v1, -0.5, v39
	v_add_f32_e32 v3, v19, v5
	s_delay_alu instid0(VALU_DEP_4)
	v_dual_sub_f32 v5, v5, v9 :: v_dual_fmamk_f32 v34, v11, 0x3f5db3d7, v21
	v_fmac_f32_e32 v19, -0.5, v44
	v_fmamk_f32 v35, v36, 0xbf5db3d7, v22
	v_fmac_f32_e32 v22, 0x3f5db3d7, v36
	v_add_f32_e32 v2, v3, v9
	v_add_f32_e32 v3, v48, v45
	v_fmac_f32_e32 v21, 0xbf5db3d7, v11
	v_fmamk_f32 v9, v42, 0xbf5db3d7, v1
	v_fmac_f32_e32 v1, 0x3f5db3d7, v42
	v_fmamk_f32 v10, v4, 0x3f5db3d7, v19
	v_fmamk_f32 v11, v5, 0xbf5db3d7, v20
	ds_store_2addr_b64 v46, v[6:7], v[34:35] offset1:7
	ds_store_b64 v46, v[21:22] offset:112
	ds_store_2addr_b64 v47, v[12:13], v[8:9] offset1:7
	ds_store_b64 v47, v[0:1] offset:112
	s_and_saveexec_b32 s1, s0
	s_cbranch_execz .LBB0_16
; %bb.15:
	v_dual_mul_f32 v5, 0x3f5db3d7, v5 :: v_dual_mul_f32 v4, 0x3f5db3d7, v4
	v_and_b32_e32 v6, 0xffff, v33
	v_lshlrev_b32_e32 v7, 3, v31
	s_delay_alu instid0(VALU_DEP_3) | instskip(NEXT) | instid1(VALU_DEP_4)
	v_add_f32_e32 v5, v5, v20
	v_sub_f32_e32 v4, v19, v4
	s_delay_alu instid0(VALU_DEP_4) | instskip(NEXT) | instid1(VALU_DEP_1)
	v_mad_u32_u24 v6, 0xa8, v6, 0
	v_add3_u32 v6, v6, v7, v25
	ds_store_2addr_b64 v6, v[2:3], v[10:11] offset1:7
	ds_store_b64 v6, v[4:5] offset:112
.LBB0_16:
	s_or_b32 exec_lo, exec_lo, s1
	v_add_nc_u32_e32 v21, 0x400, v24
	s_waitcnt lgkmcnt(0)
	s_barrier
	buffer_gl0_inv
	v_cmp_gt_u32_e64 s0, 63, v18
	ds_load_2addr_b64 v[4:7], v21 offset0:19 offset1:166
	ds_load_b64 v[12:13], v26
	ds_load_b64 v[19:20], v24 offset:3528
	s_and_saveexec_b32 s1, s0
	s_cbranch_execz .LBB0_18
; %bb.17:
	ds_load_2addr_b64 v[0:3], v21 offset0:103 offset1:250
	ds_load_b64 v[8:9], v28
	ds_load_b64 v[10:11], v24 offset:4200
.LBB0_18:
	s_or_b32 exec_lo, exec_lo, s1
	v_mul_lo_u16 v21, 0x87, v32
	s_delay_alu instid0(VALU_DEP_1) | instskip(NEXT) | instid1(VALU_DEP_1)
	v_lshrrev_b16 v21, 8, v21
	v_sub_nc_u16 v22, v18, v21
	s_delay_alu instid0(VALU_DEP_1) | instskip(NEXT) | instid1(VALU_DEP_1)
	v_lshrrev_b16 v22, 1, v22
	v_and_b32_e32 v22, 0x7f, v22
	s_delay_alu instid0(VALU_DEP_1) | instskip(NEXT) | instid1(VALU_DEP_1)
	v_add_nc_u16 v21, v22, v21
	v_lshrrev_b16 v21, 4, v21
	s_delay_alu instid0(VALU_DEP_1) | instskip(NEXT) | instid1(VALU_DEP_1)
	v_and_b32_e32 v35, 15, v21
	v_mul_lo_u16 v21, v35, 21
	s_delay_alu instid0(VALU_DEP_1) | instskip(NEXT) | instid1(VALU_DEP_1)
	v_sub_nc_u16 v21, v18, v21
	v_and_b32_e32 v36, 0xff, v21
	s_delay_alu instid0(VALU_DEP_1) | instskip(NEXT) | instid1(VALU_DEP_1)
	v_mul_u32_u24_e32 v21, 3, v36
	v_lshlrev_b32_e32 v21, 3, v21
	s_clause 0x1
	global_load_b128 v[31:34], v21, s[8:9] offset:112
	global_load_b64 v[21:22], v21, s[8:9] offset:128
	s_waitcnt vmcnt(0) lgkmcnt(0)
	s_barrier
	buffer_gl0_inv
	v_dual_mul_f32 v38, v34, v7 :: v_dual_mul_f32 v37, v32, v5
	v_mul_f32_e32 v32, v32, v4
	v_mul_f32_e32 v34, v34, v6
	;; [unrolled: 1-line block ×3, first 2 shown]
	s_delay_alu instid0(VALU_DEP_4) | instskip(NEXT) | instid1(VALU_DEP_4)
	v_fma_f32 v4, v31, v4, -v37
	v_fmac_f32_e32 v32, v31, v5
	v_fma_f32 v5, v33, v6, -v38
	v_mul_f32_e32 v22, v22, v19
	v_fmac_f32_e32 v34, v33, v7
	v_fma_f32 v6, v21, v19, -v39
	v_and_b32_e32 v7, 0xffff, v35
	v_sub_f32_e32 v19, v12, v5
	s_delay_alu instid0(VALU_DEP_3) | instskip(SKIP_1) | instid1(VALU_DEP_4)
	v_dual_sub_f32 v5, v4, v6 :: v_dual_fmac_f32 v22, v21, v20
	v_sub_f32_e32 v20, v13, v34
	v_mad_u32_u24 v21, 0x2a0, v7, 0
	s_delay_alu instid0(VALU_DEP_3) | instskip(NEXT) | instid1(VALU_DEP_3)
	v_fma_f32 v7, v4, 2.0, -v5
	v_add_f32_e32 v5, v20, v5
	v_sub_f32_e32 v6, v32, v22
	v_fma_f32 v22, v12, 2.0, -v19
	v_fma_f32 v31, v13, 2.0, -v20
	v_lshlrev_b32_e32 v13, 3, v36
	s_delay_alu instid0(VALU_DEP_4) | instskip(SKIP_2) | instid1(VALU_DEP_4)
	v_fma_f32 v12, v32, 2.0, -v6
	v_sub_f32_e32 v4, v19, v6
	v_sub_f32_e32 v6, v22, v7
	v_add3_u32 v21, v21, v13, v25
	s_delay_alu instid0(VALU_DEP_4) | instskip(NEXT) | instid1(VALU_DEP_4)
	v_sub_f32_e32 v7, v31, v12
	v_fma_f32 v12, v19, 2.0, -v4
	v_fma_f32 v13, v20, 2.0, -v5
	;; [unrolled: 1-line block ×3, first 2 shown]
	s_delay_alu instid0(VALU_DEP_4)
	v_fma_f32 v20, v31, 2.0, -v7
	ds_store_2addr_b64 v21, v[19:20], v[12:13] offset1:21
	ds_store_2addr_b64 v21, v[6:7], v[4:5] offset0:42 offset1:63
	s_and_saveexec_b32 s1, s0
	s_cbranch_execz .LBB0_20
; %bb.19:
	v_mul_lo_u16 v4, 0x87, v30
	s_delay_alu instid0(VALU_DEP_1) | instskip(NEXT) | instid1(VALU_DEP_1)
	v_lshrrev_b16 v4, 8, v4
	v_sub_nc_u16 v5, v27, v4
	s_delay_alu instid0(VALU_DEP_1) | instskip(NEXT) | instid1(VALU_DEP_1)
	v_lshrrev_b16 v5, 1, v5
	v_and_b32_e32 v5, 0x7f, v5
	s_delay_alu instid0(VALU_DEP_1) | instskip(NEXT) | instid1(VALU_DEP_1)
	v_add_nc_u16 v4, v5, v4
	v_lshrrev_b16 v4, 4, v4
	s_delay_alu instid0(VALU_DEP_1) | instskip(NEXT) | instid1(VALU_DEP_1)
	v_and_b32_e32 v19, 15, v4
	v_mul_lo_u16 v4, v19, 21
	s_delay_alu instid0(VALU_DEP_1) | instskip(NEXT) | instid1(VALU_DEP_1)
	v_sub_nc_u16 v4, v27, v4
	v_and_b32_e32 v20, 0xff, v4
	s_delay_alu instid0(VALU_DEP_1) | instskip(NEXT) | instid1(VALU_DEP_1)
	v_mul_u32_u24_e32 v4, 3, v20
	v_lshlrev_b32_e32 v12, 3, v4
	s_clause 0x1
	global_load_b128 v[4:7], v12, s[8:9] offset:112
	global_load_b64 v[12:13], v12, s[8:9] offset:128
	s_waitcnt vmcnt(1)
	v_mul_f32_e32 v21, v2, v7
	s_waitcnt vmcnt(0)
	v_mul_f32_e32 v27, v11, v13
	v_mul_f32_e32 v22, v1, v5
	;; [unrolled: 1-line block ×4, first 2 shown]
	s_delay_alu instid0(VALU_DEP_3) | instskip(NEXT) | instid1(VALU_DEP_3)
	v_fma_f32 v0, v0, v4, -v22
	v_fmac_f32_e32 v5, v1, v4
	s_delay_alu instid0(VALU_DEP_3) | instskip(SKIP_3) | instid1(VALU_DEP_3)
	v_fmac_f32_e32 v13, v11, v12
	v_fmac_f32_e32 v21, v3, v6
	v_mul_f32_e32 v7, v3, v7
	v_and_b32_e32 v3, 0xffff, v19
	v_dual_sub_f32 v4, v9, v21 :: v_dual_lshlrev_b32 v11, 3, v20
	s_delay_alu instid0(VALU_DEP_3)
	v_fma_f32 v1, v2, v6, -v7
	v_fma_f32 v2, v10, v12, -v27
	v_sub_f32_e32 v6, v5, v13
	v_mad_u32_u24 v10, 0x2a0, v3, 0
	v_fma_f32 v9, v9, 2.0, -v4
	v_sub_f32_e32 v7, v8, v1
	v_sub_f32_e32 v1, v0, v2
	v_fma_f32 v2, v5, 2.0, -v6
	v_add3_u32 v10, v10, v11, v25
	s_delay_alu instid0(VALU_DEP_4) | instskip(NEXT) | instid1(VALU_DEP_4)
	v_fma_f32 v8, v8, 2.0, -v7
	v_fma_f32 v5, v0, 2.0, -v1
	v_dual_add_f32 v1, v4, v1 :: v_dual_sub_f32 v0, v7, v6
	s_delay_alu instid0(VALU_DEP_2) | instskip(NEXT) | instid1(VALU_DEP_2)
	v_dual_sub_f32 v3, v9, v2 :: v_dual_sub_f32 v2, v8, v5
	v_fma_f32 v5, v4, 2.0, -v1
	s_delay_alu instid0(VALU_DEP_3) | instskip(NEXT) | instid1(VALU_DEP_3)
	v_fma_f32 v4, v7, 2.0, -v0
	v_fma_f32 v7, v9, 2.0, -v3
	s_delay_alu instid0(VALU_DEP_4)
	v_fma_f32 v6, v8, 2.0, -v2
	ds_store_2addr_b64 v10, v[6:7], v[4:5] offset1:21
	ds_store_2addr_b64 v10, v[2:3], v[0:1] offset0:42 offset1:63
.LBB0_20:
	s_or_b32 exec_lo, exec_lo, s1
	v_mul_u32_u24_e32 v0, 6, v18
	s_waitcnt lgkmcnt(0)
	s_barrier
	buffer_gl0_inv
	v_add3_u32 v19, 0, v29, v25
	v_lshlrev_b32_e32 v8, 3, v0
	s_clause 0x2
	global_load_b128 v[0:3], v8, s[8:9] offset:616
	global_load_b128 v[4:7], v8, s[8:9] offset:632
	;; [unrolled: 1-line block ×3, first 2 shown]
	ds_load_b64 v[12:13], v28
	ds_load_b64 v[31:32], v19
	v_add_nc_u32_e32 v20, 0x400, v24
	s_waitcnt vmcnt(2) lgkmcnt(1)
	v_dual_mul_f32 v34, v1, v13 :: v_dual_add_nc_u32 v33, 0x800, v24
	ds_load_2addr_b64 v[19:22], v20 offset0:124 offset1:208
	ds_load_2addr_b64 v[27:30], v33 offset0:164 offset1:248
	ds_load_b64 v[25:26], v26
	v_mul_f32_e32 v1, v1, v12
	s_waitcnt vmcnt(0) lgkmcnt(0)
	s_barrier
	v_fma_f32 v12, v0, v12, -v34
	buffer_gl0_inv
	v_dual_fmac_f32 v1, v0, v13 :: v_dual_mul_f32 v36, v5, v20
	v_mul_f32_e32 v37, v7, v22
	v_dual_mul_f32 v7, v7, v21 :: v_dual_mul_f32 v38, v9, v28
	v_mul_f32_e32 v39, v11, v30
	v_mul_f32_e32 v11, v11, v29
	;; [unrolled: 1-line block ×3, first 2 shown]
	s_delay_alu instid0(VALU_DEP_4) | instskip(NEXT) | instid1(VALU_DEP_4)
	v_fmac_f32_e32 v7, v6, v22
	v_fma_f32 v13, v10, v29, -v39
	v_mul_f32_e32 v9, v9, v27
	v_fmac_f32_e32 v11, v10, v30
	v_mul_f32_e32 v35, v3, v32
	v_mul_f32_e32 v3, v3, v31
	s_delay_alu instid0(VALU_DEP_3) | instskip(NEXT) | instid1(VALU_DEP_3)
	v_dual_fmac_f32 v9, v8, v28 :: v_dual_add_f32 v10, v1, v11
	v_fma_f32 v0, v2, v31, -v35
	s_delay_alu instid0(VALU_DEP_3)
	v_fmac_f32_e32 v3, v2, v32
	v_fma_f32 v2, v4, v19, -v36
	v_fmac_f32_e32 v5, v4, v20
	v_fma_f32 v4, v6, v21, -v37
	v_fma_f32 v6, v8, v27, -v38
	v_add_f32_e32 v8, v12, v13
	v_sub_f32_e32 v12, v12, v13
	v_add_f32_e32 v13, v3, v9
	s_delay_alu instid0(VALU_DEP_1)
	v_sub_f32_e32 v20, v13, v10
	v_sub_f32_e32 v1, v1, v11
	v_add_f32_e32 v11, v0, v6
	v_sub_f32_e32 v0, v0, v6
	v_add_f32_e32 v6, v2, v4
	v_dual_sub_f32 v2, v4, v2 :: v_dual_sub_f32 v3, v3, v9
	s_delay_alu instid0(VALU_DEP_3) | instskip(NEXT) | instid1(VALU_DEP_2)
	v_dual_sub_f32 v4, v7, v5 :: v_dual_sub_f32 v29, v0, v12
	v_add_f32_e32 v21, v2, v0
	v_sub_f32_e32 v27, v2, v0
	v_dual_sub_f32 v19, v11, v8 :: v_dual_sub_f32 v2, v12, v2
	s_delay_alu instid0(VALU_DEP_4)
	v_add_f32_e32 v22, v4, v3
	v_add_f32_e32 v9, v5, v7
	v_dual_sub_f32 v28, v4, v3 :: v_dual_add_f32 v7, v13, v10
	v_dual_add_f32 v5, v11, v8 :: v_dual_sub_f32 v8, v8, v6
	v_dual_sub_f32 v4, v1, v4 :: v_dual_sub_f32 v3, v3, v1
	v_sub_f32_e32 v11, v6, v11
	s_delay_alu instid0(VALU_DEP_3) | instskip(NEXT) | instid1(VALU_DEP_3)
	v_dual_add_f32 v5, v6, v5 :: v_dual_mul_f32 v8, 0x3f4a47b2, v8
	v_dual_sub_f32 v13, v9, v13 :: v_dual_mul_f32 v30, 0x3f5ff5aa, v3
	v_sub_f32_e32 v10, v10, v9
	v_add_f32_e32 v6, v9, v7
	s_delay_alu instid0(VALU_DEP_4) | instskip(SKIP_4) | instid1(VALU_DEP_3)
	v_add_f32_e32 v0, v5, v25
	v_add_f32_e32 v7, v21, v12
	v_mul_f32_e32 v21, 0x3d64c772, v13
	v_dual_add_f32 v9, v22, v1 :: v_dual_mul_f32 v10, 0x3f4a47b2, v10
	v_mul_f32_e32 v22, 0xbf08b237, v27
	v_fma_f32 v21, 0x3f3bfb3b, v20, -v21
	v_mul_f32_e32 v27, 0xbf08b237, v28
	s_delay_alu instid0(VALU_DEP_4) | instskip(SKIP_1) | instid1(VALU_DEP_3)
	v_fmamk_f32 v13, v13, 0x3d64c772, v10
	v_fma_f32 v10, 0xbf3bfb3b, v20, -v10
	v_fmamk_f32 v20, v4, 0x3eae86e6, v27
	v_fma_f32 v25, 0x3f5ff5aa, v3, -v27
	v_fma_f32 v27, 0xbeae86e6, v4, -v30
	s_delay_alu instid0(VALU_DEP_3) | instskip(SKIP_4) | instid1(VALU_DEP_4)
	v_fmac_f32_e32 v20, 0x3ee1c552, v9
	v_mul_f32_e32 v28, 0x3f5ff5aa, v29
	v_dual_mul_f32 v12, 0x3d64c772, v11 :: v_dual_fmamk_f32 v11, v11, 0x3d64c772, v8
	v_fma_f32 v8, 0xbf3bfb3b, v19, -v8
	v_add_f32_e32 v1, v6, v26
	v_fma_f32 v26, 0xbeae86e6, v2, -v28
	s_delay_alu instid0(VALU_DEP_4) | instskip(SKIP_2) | instid1(VALU_DEP_1)
	v_fma_f32 v12, 0x3f3bfb3b, v19, -v12
	v_fmamk_f32 v19, v2, 0x3eae86e6, v22
	v_fma_f32 v22, 0x3f5ff5aa, v29, -v22
	v_fmac_f32_e32 v22, 0x3ee1c552, v7
	v_fmamk_f32 v2, v5, 0xbf955555, v0
	s_delay_alu instid0(VALU_DEP_1)
	v_add_f32_e32 v28, v11, v2
	v_dual_fmac_f32 v26, 0x3ee1c552, v7 :: v_dual_fmac_f32 v25, 0x3ee1c552, v9
	v_fmac_f32_e32 v27, 0x3ee1c552, v9
	v_add_f32_e32 v9, v12, v2
	v_add_f32_e32 v11, v8, v2
	v_dual_add_f32 v2, v20, v28 :: v_dual_fmamk_f32 v3, v6, 0xbf955555, v1
	s_delay_alu instid0(VALU_DEP_3) | instskip(NEXT) | instid1(VALU_DEP_3)
	v_sub_f32_e32 v6, v9, v25
	v_add_f32_e32 v4, v27, v11
	v_add_f32_e32 v8, v25, v9
	s_delay_alu instid0(VALU_DEP_4) | instskip(SKIP_2) | instid1(VALU_DEP_3)
	v_add_f32_e32 v12, v10, v3
	v_add_f32_e32 v10, v21, v3
	v_fmac_f32_e32 v19, 0x3ee1c552, v7
	v_sub_f32_e32 v5, v12, v26
	s_delay_alu instid0(VALU_DEP_3) | instskip(SKIP_3) | instid1(VALU_DEP_2)
	v_add_f32_e32 v7, v22, v10
	v_dual_sub_f32 v9, v10, v22 :: v_dual_sub_f32 v10, v11, v27
	v_add_f32_e32 v13, v13, v3
	v_add_f32_e32 v11, v26, v12
	v_dual_sub_f32 v12, v28, v20 :: v_dual_sub_f32 v3, v13, v19
	v_add_f32_e32 v13, v19, v13
	ds_store_2addr_b64 v24, v[0:1], v[2:3] offset1:84
	ds_store_2addr_b64 v24, v[4:5], v[6:7] offset0:168 offset1:252
	ds_store_2addr_b64 v33, v[8:9], v[10:11] offset0:80 offset1:164
	ds_store_b64 v24, v[12:13] offset:4032
	s_waitcnt lgkmcnt(0)
	s_barrier
	buffer_gl0_inv
	s_and_saveexec_b32 s0, vcc_lo
	s_cbranch_execz .LBB0_22
; %bb.21:
	v_mul_lo_u32 v2, s3, v16
	v_mul_lo_u32 v3, s2, v17
	v_mad_u64_u32 v[0:1], null, s2, v16, 0
	v_dual_mov_b32 v19, 0 :: v_dual_add_nc_u32 v6, 0x54, v18
	v_lshlrev_b64 v[4:5], 3, v[14:15]
	v_add_nc_u32_e32 v8, 0xa8, v18
	v_lshl_add_u32 v26, v18, 3, v23
	s_delay_alu instid0(VALU_DEP_4)
	v_mov_b32_e32 v7, v19
	v_add3_u32 v1, v1, v3, v2
	v_lshlrev_b64 v[12:13], 3, v[18:19]
	v_mov_b32_e32 v9, v19
	v_add_nc_u32_e32 v27, 0x800, v26
	v_lshlrev_b64 v[6:7], 3, v[6:7]
	v_lshlrev_b64 v[10:11], 3, v[0:1]
	ds_load_2addr_b64 v[0:3], v26 offset1:84
	v_dual_mov_b32 v21, v19 :: v_dual_add_nc_u32 v20, 0x1a4, v18
	v_add_co_u32 v10, vcc_lo, s6, v10
	v_add_co_ci_u32_e32 v11, vcc_lo, s7, v11, vcc_lo
	s_delay_alu instid0(VALU_DEP_3) | instskip(NEXT) | instid1(VALU_DEP_3)
	v_lshlrev_b64 v[20:21], 3, v[20:21]
	v_add_co_u32 v28, vcc_lo, v10, v4
	s_delay_alu instid0(VALU_DEP_3) | instskip(SKIP_2) | instid1(VALU_DEP_4)
	v_add_co_ci_u32_e32 v29, vcc_lo, v11, v5, vcc_lo
	v_add_nc_u32_e32 v10, 0xfc, v18
	v_lshlrev_b64 v[8:9], 3, v[8:9]
	v_add_co_u32 v12, vcc_lo, v28, v12
	s_delay_alu instid0(VALU_DEP_4)
	v_add_co_ci_u32_e32 v13, vcc_lo, v29, v13, vcc_lo
	v_add_co_u32 v14, vcc_lo, v28, v6
	v_mov_b32_e32 v11, v19
	v_add_co_ci_u32_e32 v15, vcc_lo, v29, v7, vcc_lo
	v_add_co_u32 v16, vcc_lo, v28, v8
	v_add_co_ci_u32_e32 v17, vcc_lo, v29, v9, vcc_lo
	s_delay_alu instid0(VALU_DEP_4)
	v_lshlrev_b64 v[8:9], 3, v[10:11]
	v_add_nc_u32_e32 v10, 0x150, v18
	ds_load_2addr_b64 v[4:7], v26 offset0:168 offset1:252
	v_add_nc_u32_e32 v18, 0x1f8, v18
	v_add_co_u32 v22, vcc_lo, v28, v8
	v_add_co_ci_u32_e32 v23, vcc_lo, v29, v9, vcc_lo
	v_lshlrev_b64 v[24:25], 3, v[10:11]
	ds_load_2addr_b64 v[8:11], v27 offset0:80 offset1:164
	ds_load_b64 v[26:27], v26 offset:4032
	v_lshlrev_b64 v[18:19], 3, v[18:19]
	v_add_co_u32 v24, vcc_lo, v28, v24
	v_add_co_ci_u32_e32 v25, vcc_lo, v29, v25, vcc_lo
	v_add_co_u32 v20, vcc_lo, v28, v20
	v_add_co_ci_u32_e32 v21, vcc_lo, v29, v21, vcc_lo
	;; [unrolled: 2-line block ×3, first 2 shown]
	s_waitcnt lgkmcnt(3)
	s_clause 0x1
	global_store_b64 v[12:13], v[0:1], off
	global_store_b64 v[14:15], v[2:3], off
	s_waitcnt lgkmcnt(2)
	s_clause 0x1
	global_store_b64 v[16:17], v[4:5], off
	global_store_b64 v[22:23], v[6:7], off
	;; [unrolled: 4-line block ×3, first 2 shown]
	s_waitcnt lgkmcnt(0)
	global_store_b64 v[18:19], v[26:27], off
.LBB0_22:
	s_nop 0
	s_sendmsg sendmsg(MSG_DEALLOC_VGPRS)
	s_endpgm
	.section	.rodata,"a",@progbits
	.p2align	6, 0x0
	.amdhsa_kernel fft_rtc_fwd_len588_factors_7_3_4_7_wgs_252_tpt_84_sp_op_CI_CI_unitstride_sbrr_dirReg
		.amdhsa_group_segment_fixed_size 0
		.amdhsa_private_segment_fixed_size 0
		.amdhsa_kernarg_size 104
		.amdhsa_user_sgpr_count 15
		.amdhsa_user_sgpr_dispatch_ptr 0
		.amdhsa_user_sgpr_queue_ptr 0
		.amdhsa_user_sgpr_kernarg_segment_ptr 1
		.amdhsa_user_sgpr_dispatch_id 0
		.amdhsa_user_sgpr_private_segment_size 0
		.amdhsa_wavefront_size32 1
		.amdhsa_uses_dynamic_stack 0
		.amdhsa_enable_private_segment 0
		.amdhsa_system_sgpr_workgroup_id_x 1
		.amdhsa_system_sgpr_workgroup_id_y 0
		.amdhsa_system_sgpr_workgroup_id_z 0
		.amdhsa_system_sgpr_workgroup_info 0
		.amdhsa_system_vgpr_workitem_id 0
		.amdhsa_next_free_vgpr 54
		.amdhsa_next_free_sgpr 27
		.amdhsa_reserve_vcc 1
		.amdhsa_float_round_mode_32 0
		.amdhsa_float_round_mode_16_64 0
		.amdhsa_float_denorm_mode_32 3
		.amdhsa_float_denorm_mode_16_64 3
		.amdhsa_dx10_clamp 1
		.amdhsa_ieee_mode 1
		.amdhsa_fp16_overflow 0
		.amdhsa_workgroup_processor_mode 1
		.amdhsa_memory_ordered 1
		.amdhsa_forward_progress 0
		.amdhsa_shared_vgpr_count 0
		.amdhsa_exception_fp_ieee_invalid_op 0
		.amdhsa_exception_fp_denorm_src 0
		.amdhsa_exception_fp_ieee_div_zero 0
		.amdhsa_exception_fp_ieee_overflow 0
		.amdhsa_exception_fp_ieee_underflow 0
		.amdhsa_exception_fp_ieee_inexact 0
		.amdhsa_exception_int_div_zero 0
	.end_amdhsa_kernel
	.text
.Lfunc_end0:
	.size	fft_rtc_fwd_len588_factors_7_3_4_7_wgs_252_tpt_84_sp_op_CI_CI_unitstride_sbrr_dirReg, .Lfunc_end0-fft_rtc_fwd_len588_factors_7_3_4_7_wgs_252_tpt_84_sp_op_CI_CI_unitstride_sbrr_dirReg
                                        ; -- End function
	.section	.AMDGPU.csdata,"",@progbits
; Kernel info:
; codeLenInByte = 5612
; NumSgprs: 29
; NumVgprs: 54
; ScratchSize: 0
; MemoryBound: 0
; FloatMode: 240
; IeeeMode: 1
; LDSByteSize: 0 bytes/workgroup (compile time only)
; SGPRBlocks: 3
; VGPRBlocks: 6
; NumSGPRsForWavesPerEU: 29
; NumVGPRsForWavesPerEU: 54
; Occupancy: 16
; WaveLimiterHint : 1
; COMPUTE_PGM_RSRC2:SCRATCH_EN: 0
; COMPUTE_PGM_RSRC2:USER_SGPR: 15
; COMPUTE_PGM_RSRC2:TRAP_HANDLER: 0
; COMPUTE_PGM_RSRC2:TGID_X_EN: 1
; COMPUTE_PGM_RSRC2:TGID_Y_EN: 0
; COMPUTE_PGM_RSRC2:TGID_Z_EN: 0
; COMPUTE_PGM_RSRC2:TIDIG_COMP_CNT: 0
	.text
	.p2alignl 7, 3214868480
	.fill 96, 4, 3214868480
	.type	__hip_cuid_19850e58a05a22f6,@object ; @__hip_cuid_19850e58a05a22f6
	.section	.bss,"aw",@nobits
	.globl	__hip_cuid_19850e58a05a22f6
__hip_cuid_19850e58a05a22f6:
	.byte	0                               ; 0x0
	.size	__hip_cuid_19850e58a05a22f6, 1

	.ident	"AMD clang version 19.0.0git (https://github.com/RadeonOpenCompute/llvm-project roc-6.4.0 25133 c7fe45cf4b819c5991fe208aaa96edf142730f1d)"
	.section	".note.GNU-stack","",@progbits
	.addrsig
	.addrsig_sym __hip_cuid_19850e58a05a22f6
	.amdgpu_metadata
---
amdhsa.kernels:
  - .args:
      - .actual_access:  read_only
        .address_space:  global
        .offset:         0
        .size:           8
        .value_kind:     global_buffer
      - .offset:         8
        .size:           8
        .value_kind:     by_value
      - .actual_access:  read_only
        .address_space:  global
        .offset:         16
        .size:           8
        .value_kind:     global_buffer
      - .actual_access:  read_only
        .address_space:  global
        .offset:         24
        .size:           8
        .value_kind:     global_buffer
      - .actual_access:  read_only
        .address_space:  global
        .offset:         32
        .size:           8
        .value_kind:     global_buffer
      - .offset:         40
        .size:           8
        .value_kind:     by_value
      - .actual_access:  read_only
        .address_space:  global
        .offset:         48
        .size:           8
        .value_kind:     global_buffer
      - .actual_access:  read_only
        .address_space:  global
        .offset:         56
        .size:           8
        .value_kind:     global_buffer
      - .offset:         64
        .size:           4
        .value_kind:     by_value
      - .actual_access:  read_only
        .address_space:  global
        .offset:         72
        .size:           8
        .value_kind:     global_buffer
      - .actual_access:  read_only
        .address_space:  global
        .offset:         80
        .size:           8
        .value_kind:     global_buffer
      - .actual_access:  read_only
        .address_space:  global
        .offset:         88
        .size:           8
        .value_kind:     global_buffer
      - .actual_access:  write_only
        .address_space:  global
        .offset:         96
        .size:           8
        .value_kind:     global_buffer
    .group_segment_fixed_size: 0
    .kernarg_segment_align: 8
    .kernarg_segment_size: 104
    .language:       OpenCL C
    .language_version:
      - 2
      - 0
    .max_flat_workgroup_size: 252
    .name:           fft_rtc_fwd_len588_factors_7_3_4_7_wgs_252_tpt_84_sp_op_CI_CI_unitstride_sbrr_dirReg
    .private_segment_fixed_size: 0
    .sgpr_count:     29
    .sgpr_spill_count: 0
    .symbol:         fft_rtc_fwd_len588_factors_7_3_4_7_wgs_252_tpt_84_sp_op_CI_CI_unitstride_sbrr_dirReg.kd
    .uniform_work_group_size: 1
    .uses_dynamic_stack: false
    .vgpr_count:     54
    .vgpr_spill_count: 0
    .wavefront_size: 32
    .workgroup_processor_mode: 1
amdhsa.target:   amdgcn-amd-amdhsa--gfx1100
amdhsa.version:
  - 1
  - 2
...

	.end_amdgpu_metadata
